;; amdgpu-corpus repo=ROCm/rocFFT kind=compiled arch=gfx950 opt=O3
	.text
	.amdgcn_target "amdgcn-amd-amdhsa--gfx950"
	.amdhsa_code_object_version 6
	.protected	fft_rtc_fwd_len702_factors_13_3_6_3_wgs_117_tpt_117_halfLds_sp_op_CI_CI_unitstride_sbrr_C2R_dirReg ; -- Begin function fft_rtc_fwd_len702_factors_13_3_6_3_wgs_117_tpt_117_halfLds_sp_op_CI_CI_unitstride_sbrr_C2R_dirReg
	.globl	fft_rtc_fwd_len702_factors_13_3_6_3_wgs_117_tpt_117_halfLds_sp_op_CI_CI_unitstride_sbrr_C2R_dirReg
	.p2align	8
	.type	fft_rtc_fwd_len702_factors_13_3_6_3_wgs_117_tpt_117_halfLds_sp_op_CI_CI_unitstride_sbrr_C2R_dirReg,@function
fft_rtc_fwd_len702_factors_13_3_6_3_wgs_117_tpt_117_halfLds_sp_op_CI_CI_unitstride_sbrr_C2R_dirReg: ; @fft_rtc_fwd_len702_factors_13_3_6_3_wgs_117_tpt_117_halfLds_sp_op_CI_CI_unitstride_sbrr_C2R_dirReg
; %bb.0:
	s_load_dwordx4 s[4:7], s[0:1], 0x58
	s_load_dwordx4 s[8:11], s[0:1], 0x0
	;; [unrolled: 1-line block ×3, first 2 shown]
	v_mul_u32_u24_e32 v1, 0x231, v0
	v_add_u32_sdwa v6, s2, v1 dst_sel:DWORD dst_unused:UNUSED_PAD src0_sel:DWORD src1_sel:WORD_1
	v_mov_b32_e32 v4, 0
	s_waitcnt lgkmcnt(0)
	v_cmp_lt_u64_e64 s[2:3], s[10:11], 2
	v_mov_b32_e32 v7, v4
	s_and_b64 vcc, exec, s[2:3]
	v_mov_b64_e32 v[2:3], 0
	s_cbranch_vccnz .LBB0_8
; %bb.1:
	s_load_dwordx2 s[2:3], s[0:1], 0x10
	s_add_u32 s16, s14, 8
	s_addc_u32 s17, s15, 0
	s_add_u32 s18, s12, 8
	s_addc_u32 s19, s13, 0
	s_waitcnt lgkmcnt(0)
	s_add_u32 s20, s2, 8
	v_mov_b64_e32 v[2:3], 0
	s_addc_u32 s21, s3, 0
	s_mov_b64 s[22:23], 1
	v_mov_b64_e32 v[24:25], v[2:3]
.LBB0_2:                                ; =>This Inner Loop Header: Depth=1
	s_load_dwordx2 s[24:25], s[20:21], 0x0
                                        ; implicit-def: $vgpr26_vgpr27
	s_waitcnt lgkmcnt(0)
	v_or_b32_e32 v5, s25, v7
	v_cmp_ne_u64_e32 vcc, 0, v[4:5]
	s_and_saveexec_b64 s[2:3], vcc
	s_xor_b64 s[26:27], exec, s[2:3]
	s_cbranch_execz .LBB0_4
; %bb.3:                                ;   in Loop: Header=BB0_2 Depth=1
	v_cvt_f32_u32_e32 v1, s24
	v_cvt_f32_u32_e32 v5, s25
	s_sub_u32 s2, 0, s24
	s_subb_u32 s3, 0, s25
	v_fmac_f32_e32 v1, 0x4f800000, v5
	v_rcp_f32_e32 v1, v1
	s_nop 0
	v_mul_f32_e32 v1, 0x5f7ffffc, v1
	v_mul_f32_e32 v5, 0x2f800000, v1
	v_trunc_f32_e32 v5, v5
	v_fmac_f32_e32 v1, 0xcf800000, v5
	v_cvt_u32_f32_e32 v5, v5
	v_cvt_u32_f32_e32 v1, v1
	v_mul_lo_u32 v8, s2, v5
	v_mul_hi_u32 v10, s2, v1
	v_mul_lo_u32 v9, s3, v1
	v_add_u32_e32 v10, v10, v8
	v_mul_lo_u32 v12, s2, v1
	v_add_u32_e32 v13, v10, v9
	v_mul_hi_u32 v8, v1, v12
	v_mul_hi_u32 v11, v1, v13
	v_mul_lo_u32 v10, v1, v13
	v_mov_b32_e32 v9, v4
	v_lshl_add_u64 v[8:9], v[8:9], 0, v[10:11]
	v_mul_hi_u32 v11, v5, v12
	v_mul_lo_u32 v12, v5, v12
	v_add_co_u32_e32 v8, vcc, v8, v12
	v_mul_hi_u32 v10, v5, v13
	s_nop 0
	v_addc_co_u32_e32 v8, vcc, v9, v11, vcc
	v_mov_b32_e32 v9, v4
	s_nop 0
	v_addc_co_u32_e32 v11, vcc, 0, v10, vcc
	v_mul_lo_u32 v10, v5, v13
	v_lshl_add_u64 v[8:9], v[8:9], 0, v[10:11]
	v_add_co_u32_e32 v1, vcc, v1, v8
	v_mul_lo_u32 v10, s2, v1
	s_nop 0
	v_addc_co_u32_e32 v5, vcc, v5, v9, vcc
	v_mul_lo_u32 v8, s2, v5
	v_mul_hi_u32 v9, s2, v1
	v_add_u32_e32 v8, v9, v8
	v_mul_lo_u32 v9, s3, v1
	v_add_u32_e32 v12, v8, v9
	v_mul_hi_u32 v14, v5, v10
	v_mul_lo_u32 v15, v5, v10
	v_mul_hi_u32 v9, v1, v12
	v_mul_lo_u32 v8, v1, v12
	v_mul_hi_u32 v10, v1, v10
	v_mov_b32_e32 v11, v4
	v_lshl_add_u64 v[8:9], v[10:11], 0, v[8:9]
	v_add_co_u32_e32 v8, vcc, v8, v15
	v_mul_hi_u32 v13, v5, v12
	s_nop 0
	v_addc_co_u32_e32 v8, vcc, v9, v14, vcc
	v_mul_lo_u32 v10, v5, v12
	s_nop 0
	v_addc_co_u32_e32 v11, vcc, 0, v13, vcc
	v_mov_b32_e32 v9, v4
	v_lshl_add_u64 v[8:9], v[8:9], 0, v[10:11]
	v_add_co_u32_e32 v1, vcc, v1, v8
	v_mul_hi_u32 v10, v6, v1
	s_nop 0
	v_addc_co_u32_e32 v5, vcc, v5, v9, vcc
	v_mad_u64_u32 v[8:9], s[2:3], v6, v5, 0
	v_mov_b32_e32 v11, v4
	v_lshl_add_u64 v[8:9], v[10:11], 0, v[8:9]
	v_mad_u64_u32 v[12:13], s[2:3], v7, v1, 0
	v_add_co_u32_e32 v1, vcc, v8, v12
	v_mad_u64_u32 v[10:11], s[2:3], v7, v5, 0
	s_nop 0
	v_addc_co_u32_e32 v8, vcc, v9, v13, vcc
	v_mov_b32_e32 v9, v4
	s_nop 0
	v_addc_co_u32_e32 v11, vcc, 0, v11, vcc
	v_lshl_add_u64 v[8:9], v[8:9], 0, v[10:11]
	v_mul_lo_u32 v1, s25, v8
	v_mul_lo_u32 v5, s24, v9
	v_mad_u64_u32 v[10:11], s[2:3], s24, v8, 0
	v_add3_u32 v1, v11, v5, v1
	v_sub_u32_e32 v5, v7, v1
	v_mov_b32_e32 v11, s25
	v_sub_co_u32_e32 v14, vcc, v6, v10
	v_lshl_add_u64 v[12:13], v[8:9], 0, 1
	s_nop 0
	v_subb_co_u32_e64 v5, s[2:3], v5, v11, vcc
	v_subrev_co_u32_e64 v10, s[2:3], s24, v14
	v_subb_co_u32_e32 v1, vcc, v7, v1, vcc
	s_nop 0
	v_subbrev_co_u32_e64 v5, s[2:3], 0, v5, s[2:3]
	v_cmp_le_u32_e64 s[2:3], s25, v5
	v_cmp_le_u32_e32 vcc, s25, v1
	s_nop 0
	v_cndmask_b32_e64 v11, 0, -1, s[2:3]
	v_cmp_le_u32_e64 s[2:3], s24, v10
	s_nop 1
	v_cndmask_b32_e64 v10, 0, -1, s[2:3]
	v_cmp_eq_u32_e64 s[2:3], s25, v5
	s_nop 1
	v_cndmask_b32_e64 v5, v11, v10, s[2:3]
	v_lshl_add_u64 v[10:11], v[8:9], 0, 2
	v_cmp_ne_u32_e64 s[2:3], 0, v5
	s_nop 1
	v_cndmask_b32_e64 v5, v13, v11, s[2:3]
	v_cndmask_b32_e64 v11, 0, -1, vcc
	v_cmp_le_u32_e32 vcc, s24, v14
	s_nop 1
	v_cndmask_b32_e64 v13, 0, -1, vcc
	v_cmp_eq_u32_e32 vcc, s25, v1
	s_nop 1
	v_cndmask_b32_e32 v1, v11, v13, vcc
	v_cmp_ne_u32_e32 vcc, 0, v1
	v_cndmask_b32_e64 v1, v12, v10, s[2:3]
	s_nop 0
	v_cndmask_b32_e32 v27, v9, v5, vcc
	v_cndmask_b32_e32 v26, v8, v1, vcc
.LBB0_4:                                ;   in Loop: Header=BB0_2 Depth=1
	s_andn2_saveexec_b64 s[2:3], s[26:27]
	s_cbranch_execz .LBB0_6
; %bb.5:                                ;   in Loop: Header=BB0_2 Depth=1
	v_cvt_f32_u32_e32 v1, s24
	s_sub_i32 s26, 0, s24
	v_mov_b32_e32 v27, v4
	v_rcp_iflag_f32_e32 v1, v1
	s_nop 0
	v_mul_f32_e32 v1, 0x4f7ffffe, v1
	v_cvt_u32_f32_e32 v1, v1
	v_mul_lo_u32 v5, s26, v1
	v_mul_hi_u32 v5, v1, v5
	v_add_u32_e32 v1, v1, v5
	v_mul_hi_u32 v1, v6, v1
	v_mul_lo_u32 v5, v1, s24
	v_sub_u32_e32 v5, v6, v5
	v_add_u32_e32 v8, 1, v1
	v_subrev_u32_e32 v9, s24, v5
	v_cmp_le_u32_e32 vcc, s24, v5
	s_nop 1
	v_cndmask_b32_e32 v5, v5, v9, vcc
	v_cndmask_b32_e32 v1, v1, v8, vcc
	v_add_u32_e32 v8, 1, v1
	v_cmp_le_u32_e32 vcc, s24, v5
	s_nop 1
	v_cndmask_b32_e32 v26, v1, v8, vcc
.LBB0_6:                                ;   in Loop: Header=BB0_2 Depth=1
	s_or_b64 exec, exec, s[2:3]
	v_mad_u64_u32 v[8:9], s[2:3], v26, s24, 0
	s_load_dwordx2 s[2:3], s[18:19], 0x0
	v_mul_lo_u32 v1, v27, s24
	v_mul_lo_u32 v5, v26, s25
	s_load_dwordx2 s[24:25], s[16:17], 0x0
	s_add_u32 s22, s22, 1
	v_add3_u32 v1, v9, v5, v1
	v_sub_co_u32_e32 v5, vcc, v6, v8
	s_addc_u32 s23, s23, 0
	s_nop 0
	v_subb_co_u32_e32 v1, vcc, v7, v1, vcc
	s_add_u32 s16, s16, 8
	s_waitcnt lgkmcnt(0)
	v_mul_lo_u32 v6, s2, v1
	v_mul_lo_u32 v7, s3, v5
	v_mad_u64_u32 v[2:3], s[2:3], s2, v5, v[2:3]
	s_addc_u32 s17, s17, 0
	v_add3_u32 v3, v7, v3, v6
	v_mul_lo_u32 v1, s24, v1
	v_mul_lo_u32 v6, s25, v5
	v_mad_u64_u32 v[24:25], s[2:3], s24, v5, v[24:25]
	s_add_u32 s18, s18, 8
	v_add3_u32 v25, v6, v25, v1
	s_addc_u32 s19, s19, 0
	v_mov_b64_e32 v[6:7], s[10:11]
	s_add_u32 s20, s20, 8
	v_cmp_ge_u64_e32 vcc, s[22:23], v[6:7]
	s_addc_u32 s21, s21, 0
	s_cbranch_vccnz .LBB0_9
; %bb.7:                                ;   in Loop: Header=BB0_2 Depth=1
	v_mov_b64_e32 v[6:7], v[26:27]
	s_branch .LBB0_2
.LBB0_8:
	v_mov_b64_e32 v[24:25], v[2:3]
	v_mov_b64_e32 v[26:27], v[6:7]
.LBB0_9:
	s_load_dwordx2 s[18:19], s[0:1], 0x28
	s_lshl_b64 s[16:17], s[10:11], 3
	s_add_u32 s2, s14, s16
	s_addc_u32 s3, s15, s17
                                        ; implicit-def: $vgpr28
	s_waitcnt lgkmcnt(0)
	v_cmp_gt_u64_e64 s[0:1], s[18:19], v[26:27]
	v_cmp_le_u64_e32 vcc, s[18:19], v[26:27]
	s_and_saveexec_b64 s[10:11], vcc
	s_xor_b64 s[10:11], exec, s[10:11]
; %bb.10:
	s_mov_b32 s14, 0x2302303
	v_mul_hi_u32 v1, v0, s14
	v_mul_u32_u24_e32 v1, 0x75, v1
	v_sub_u32_e32 v28, v0, v1
                                        ; implicit-def: $vgpr0
                                        ; implicit-def: $vgpr2_vgpr3
; %bb.11:
	s_or_saveexec_b64 s[10:11], s[10:11]
	s_load_dwordx2 s[2:3], s[2:3], 0x0
	s_xor_b64 exec, exec, s[10:11]
	s_cbranch_execz .LBB0_15
; %bb.12:
	s_add_u32 s12, s12, s16
	s_addc_u32 s13, s13, s17
	s_load_dwordx2 s[12:13], s[12:13], 0x0
	s_mov_b32 s14, 0x2302303
	s_waitcnt lgkmcnt(0)
	v_mul_lo_u32 v1, s13, v26
	v_mul_lo_u32 v6, s12, v27
	v_mad_u64_u32 v[4:5], s[12:13], s12, v26, 0
	v_add3_u32 v5, v5, v6, v1
	v_mul_hi_u32 v1, v0, s14
	v_mul_u32_u24_e32 v1, 0x75, v1
	v_sub_u32_e32 v28, v0, v1
	v_lshl_add_u64 v[0:1], v[4:5], 3, s[4:5]
	v_lshl_add_u64 v[2:3], v[2:3], 3, v[0:1]
	v_lshlrev_b32_e32 v0, 3, v28
	v_mov_b32_e32 v1, 0
	v_lshl_add_u64 v[4:5], v[2:3], 0, v[0:1]
	v_add_co_u32_e32 v14, vcc, 0x1000, v4
	global_load_dwordx2 v[6:7], v[4:5], off
	global_load_dwordx2 v[8:9], v[4:5], off offset:936
	global_load_dwordx2 v[10:11], v[4:5], off offset:1872
	;; [unrolled: 1-line block ×3, first 2 shown]
	v_addc_co_u32_e32 v15, vcc, 0, v5, vcc
	global_load_dwordx2 v[16:17], v[4:5], off offset:3744
	global_load_dwordx2 v[18:19], v[14:15], off offset:584
	s_movk_i32 s4, 0x74
	v_add_u32_e32 v0, 0, v0
	v_cmp_eq_u32_e32 vcc, s4, v28
	v_add_u32_e32 v4, 0x400, v0
	v_add_u32_e32 v5, 0xc00, v0
	s_waitcnt vmcnt(4)
	ds_write2_b64 v0, v[6:7], v[8:9] offset1:117
	s_waitcnt vmcnt(2)
	ds_write2_b64 v4, v[10:11], v[12:13] offset0:106 offset1:223
	s_waitcnt vmcnt(0)
	ds_write2_b64 v5, v[16:17], v[18:19] offset0:84 offset1:201
	s_and_saveexec_b64 s[4:5], vcc
	s_cbranch_execz .LBB0_14
; %bb.13:
	v_add_co_u32_e32 v2, vcc, 0x1000, v2
	v_mov_b32_e32 v28, 0x74
	s_nop 0
	v_addc_co_u32_e32 v3, vcc, 0, v3, vcc
	global_load_dwordx2 v[2:3], v[2:3], off offset:1520
	s_waitcnt vmcnt(0)
	ds_write_b64 v1, v[2:3] offset:5616
.LBB0_14:
	s_or_b64 exec, exec, s[4:5]
.LBB0_15:
	s_or_b64 exec, exec, s[10:11]
	v_lshlrev_b32_e32 v0, 3, v28
	v_add_u32_e32 v100, 0, v0
	s_waitcnt lgkmcnt(0)
	s_barrier
	v_sub_u32_e32 v4, 0, v0
	ds_read_b32 v1, v100
	ds_read_b32 v2, v4 offset:5616
	s_add_u32 s4, s8, 0x1588
	s_addc_u32 s5, s9, 0
	v_cmp_ne_u32_e32 vcc, 0, v28
	s_waitcnt lgkmcnt(0)
	v_add_f32_e32 v0, v2, v1
	v_sub_f32_e32 v1, v1, v2
                                        ; implicit-def: $vgpr2_vgpr3
	s_and_saveexec_b64 s[10:11], vcc
	s_xor_b64 s[10:11], exec, s[10:11]
	s_cbranch_execz .LBB0_17
; %bb.16:
	v_mov_b32_e32 v29, 0
	v_lshl_add_u64 v[2:3], v[28:29], 3, s[4:5]
	global_load_dwordx2 v[6:7], v[2:3], off
	ds_read_b32 v5, v4 offset:5620
	ds_read_b32 v11, v100 offset:4
	v_mov_b32_e32 v8, v1
	v_mov_b32_e32 v10, v0
	;; [unrolled: 1-line block ×3, first 2 shown]
	v_mov_b64_e32 v[2:3], v[28:29]
	s_waitcnt lgkmcnt(0)
	v_add_f32_e32 v9, v5, v11
	v_sub_f32_e32 v11, v11, v5
	v_mov_b32_e32 v12, v9
	s_waitcnt vmcnt(0)
	v_pk_mul_f32 v[14:15], v[8:9], v[6:7] op_sel:[0,1]
	v_pk_fma_f32 v[8:9], v[8:9], v[6:7], v[10:11] op_sel:[0,1,0]
	v_mov_b32_e32 v1, v15
	v_mov_b32_e32 v15, v11
	v_pk_fma_f32 v[16:17], v[6:7], v[12:13], v[8:9] neg_lo:[1,0,0] neg_hi:[1,0,0]
	v_pk_fma_f32 v[8:9], v[6:7], v[12:13], v[8:9] op_sel_hi:[0,1,1]
	v_pk_add_f32 v[0:1], v[0:1], v[14:15] neg_lo:[0,1] neg_hi:[0,1]
	v_mov_b32_e32 v17, v9
	v_pk_fma_f32 v[0:1], v[6:7], v[12:13], v[0:1] op_sel_hi:[0,1,1]
	ds_write_b64 v4, v[0:1] offset:5616
	v_mov_b64_e32 v[0:1], v[16:17]
.LBB0_17:
	s_andn2_saveexec_b64 s[10:11], s[10:11]
	s_cbranch_execz .LBB0_19
; %bb.18:
	v_mov_b32_e32 v5, 0
	ds_read_b64 v[2:3], v5 offset:2808
	s_mov_b32 s12, 2.0
	s_mov_b32 s13, -2.0
	s_waitcnt lgkmcnt(0)
	v_pk_mul_f32 v[2:3], v[2:3], s[12:13]
	ds_write_b64 v5, v[2:3] offset:2808
	v_mov_b64_e32 v[2:3], 0
.LBB0_19:
	s_or_b64 exec, exec, s[10:11]
	v_lshl_add_u64 v[2:3], v[2:3], 3, s[4:5]
	global_load_dwordx2 v[6:7], v[2:3], off offset:936
	global_load_dwordx2 v[8:9], v[2:3], off offset:1872
	ds_write_b64 v100, v[0:1]
	ds_read_b64 v[0:1], v4 offset:4680
	ds_read_b64 v[2:3], v100 offset:936
	v_add_u32_e32 v5, 0x1000, v100
	v_add_u32_e32 v29, 0x400, v100
	;; [unrolled: 1-line block ×3, first 2 shown]
	v_cmp_gt_u32_e32 vcc, 54, v28
	s_waitcnt lgkmcnt(0)
	v_pk_add_f32 v[10:11], v[2:3], v[0:1]
	v_pk_add_f32 v[0:1], v[2:3], v[0:1] neg_lo:[0,1] neg_hi:[0,1]
	v_mov_b32_e32 v2, v11
	v_mov_b32_e32 v3, v0
	;; [unrolled: 1-line block ×3, first 2 shown]
	s_waitcnt vmcnt(1)
	v_pk_mul_f32 v[12:13], v[2:3], v[6:7] op_sel:[0,1]
	s_nop 0
	v_pk_add_f32 v[14:15], v[10:11], v[12:13] op_sel:[0,1] op_sel_hi:[1,0]
	v_mov_b32_e32 v11, v12
	v_mov_b32_e32 v0, v13
	v_pk_fma_f32 v[12:13], v[6:7], v[2:3], v[14:15] neg_lo:[1,0,0] neg_hi:[1,0,0]
	v_pk_fma_f32 v[14:15], v[6:7], v[2:3], v[14:15] op_sel_hi:[0,1,1]
	v_pk_add_f32 v[0:1], v[10:11], v[0:1] neg_lo:[0,1] neg_hi:[0,1]
	v_mov_b32_e32 v13, v15
	v_pk_fma_f32 v[0:1], v[6:7], v[2:3], v[0:1] op_sel_hi:[0,1,1]
	ds_write_b64 v100, v[12:13] offset:936
	ds_write_b64 v4, v[0:1] offset:4680
	ds_read_b64 v[0:1], v4 offset:3744
	ds_read_b64 v[2:3], v100 offset:1872
	s_waitcnt lgkmcnt(0)
	v_pk_add_f32 v[6:7], v[2:3], v[0:1]
	v_pk_add_f32 v[0:1], v[2:3], v[0:1] neg_lo:[0,1] neg_hi:[0,1]
	v_mov_b32_e32 v2, v7
	v_mov_b32_e32 v3, v0
	;; [unrolled: 1-line block ×3, first 2 shown]
	s_waitcnt vmcnt(0)
	v_pk_mul_f32 v[10:11], v[2:3], v[8:9] op_sel:[0,1]
	s_nop 0
	v_pk_add_f32 v[12:13], v[6:7], v[10:11] op_sel:[0,1] op_sel_hi:[1,0]
	v_mov_b32_e32 v7, v10
	v_mov_b32_e32 v0, v11
	v_pk_fma_f32 v[10:11], v[8:9], v[2:3], v[12:13] neg_lo:[1,0,0] neg_hi:[1,0,0]
	v_pk_fma_f32 v[12:13], v[8:9], v[2:3], v[12:13] op_sel_hi:[0,1,1]
	v_pk_add_f32 v[0:1], v[6:7], v[0:1] neg_lo:[0,1] neg_hi:[0,1]
	v_mov_b32_e32 v11, v13
	v_pk_fma_f32 v[0:1], v[8:9], v[2:3], v[0:1] op_sel_hi:[0,1,1]
	ds_write_b64 v100, v[10:11] offset:1872
	ds_write_b64 v4, v[0:1] offset:3744
	s_waitcnt lgkmcnt(0)
	s_barrier
	s_barrier
	ds_read2_b64 v[0:3], v100 offset1:54
	ds_read2_b64 v[20:23], v100 offset0:108 offset1:162
	ds_read2_b64 v[16:19], v29 offset0:88 offset1:142
	;; [unrolled: 1-line block ×5, first 2 shown]
	ds_read_b64 v[42:43], v100 offset:5184
	s_waitcnt lgkmcnt(0)
	s_barrier
	s_and_saveexec_b64 s[4:5], vcc
	s_cbranch_execz .LBB0_21
; %bb.20:
	v_pk_add_f32 v[44:45], v[2:3], v[42:43] neg_lo:[0,1] neg_hi:[0,1]
	v_pk_add_f32 v[40:41], v[42:43], v[2:3]
	v_pk_add_f32 v[2:3], v[0:1], v[2:3]
	v_mov_b32_e32 v68, v40
	v_pk_add_f32 v[2:3], v[2:3], v[20:21]
	v_mov_b32_e32 v69, v44
	v_pk_add_f32 v[2:3], v[2:3], v[22:23]
	s_mov_b32 s29, 0xbeedf032
	v_pk_add_f32 v[2:3], v[2:3], v[16:17]
	s_mov_b32 s28, 0x3f62ad3f
	v_pk_add_f32 v[2:3], v[2:3], v[18:19]
	v_mov_b32_e32 v40, v45
	v_pk_add_f32 v[2:3], v[2:3], v[12:13]
	s_mov_b32 s10, s29
	v_pk_add_f32 v[2:3], v[2:3], v[14:15]
	s_mov_b32 s11, s28
	v_pk_add_f32 v[2:3], v[2:3], v[8:9]
	v_pk_add_f32 v[46:47], v[20:21], v[6:7] neg_lo:[0,1] neg_hi:[0,1]
	v_pk_add_f32 v[2:3], v[2:3], v[10:11]
	v_pk_add_f32 v[38:39], v[6:7], v[20:21]
	;; [unrolled: 1-line block ×3, first 2 shown]
	v_pk_add_f32 v[48:49], v[22:23], v[4:5] neg_lo:[0,1] neg_hi:[0,1]
	v_pk_add_f32 v[2:3], v[2:3], v[6:7]
	v_pk_add_f32 v[36:37], v[4:5], v[22:23]
	;; [unrolled: 1-line block ×3, first 2 shown]
	v_pk_mul_f32 v[2:3], v[68:69], s[28:29]
	s_mov_b32 s36, 0x3f116cb1
	v_pk_fma_f32 v[6:7], v[40:41], s[10:11], v[2:3] neg_lo:[1,0,0] neg_hi:[1,0,0]
	v_pk_fma_f32 v[4:5], v[40:41], s[10:11], v[2:3]
	v_mov_b32_e32 v70, v38
	v_mov_b32_e32 v7, v5
	;; [unrolled: 1-line block ×3, first 2 shown]
	s_mov_b32 s37, 0xbf52af12
	v_pk_add_f32 v[50:51], v[16:17], v[10:11] neg_lo:[0,1] neg_hi:[0,1]
	v_pk_add_f32 v[34:35], v[10:11], v[16:17]
	v_pk_add_f32 v[10:11], v[0:1], v[6:7]
	v_pk_mul_f32 v[6:7], v[70:71], s[36:37]
	v_mov_b32_e32 v38, v47
	s_mov_b32 s12, s37
	s_mov_b32 s13, s36
	v_pk_add_f32 v[52:53], v[18:19], v[8:9] neg_lo:[0,1] neg_hi:[0,1]
	v_pk_add_f32 v[32:33], v[8:9], v[18:19]
	v_pk_add_f32 v[54:55], v[12:13], v[14:15] neg_lo:[0,1] neg_hi:[0,1]
	v_pk_add_f32 v[30:31], v[14:15], v[12:13]
	v_pk_fma_f32 v[12:13], v[38:39], s[12:13], v[6:7] neg_lo:[1,0,0] neg_hi:[1,0,0]
	v_pk_fma_f32 v[8:9], v[38:39], s[12:13], v[6:7]
	s_mov_b32 s42, 0x3df6dbef
	v_mov_b32_e32 v13, v9
	v_mov_b32_e32 v72, v36
	v_mov_b32_e32 v73, v48
	s_mov_b32 s43, 0xbf7e222b
	v_pk_add_f32 v[14:15], v[12:13], v[10:11]
	v_pk_mul_f32 v[10:11], v[72:73], s[42:43]
	v_mov_b32_e32 v36, v49
	s_mov_b32 s14, s43
	s_mov_b32 s15, s42
	v_pk_fma_f32 v[16:17], v[36:37], s[14:15], v[10:11] neg_lo:[1,0,0] neg_hi:[1,0,0]
	v_pk_fma_f32 v[12:13], v[36:37], s[14:15], v[10:11]
	s_mov_b32 s30, 0xbeb58ec6
	v_mov_b32_e32 v17, v13
	v_mov_b32_e32 v76, v34
	v_mov_b32_e32 v77, v50
	s_mov_b32 s31, 0xbf6f5d39
	v_pk_add_f32 v[18:19], v[16:17], v[14:15]
	v_pk_mul_f32 v[14:15], v[76:77], s[30:31]
	v_mov_b32_e32 v34, v51
	s_mov_b32 s16, s31
	s_mov_b32 s17, s30
	;; [unrolled: 12-line block ×4, first 2 shown]
	v_pk_fma_f32 v[46:47], v[30:31], s[20:21], v[22:23] neg_lo:[1,0,0] neg_hi:[1,0,0]
	v_pk_fma_f32 v[42:43], v[30:31], s[20:21], v[22:23]
	s_movk_i32 s22, 0x60
	v_mov_b32_e32 v47, v43
	v_pk_add_f32 v[44:45], v[46:47], v[44:45]
	v_mad_u32_u24 v170, v28, s22, v100
	v_pk_mul_f32 v[46:47], v[68:69], s[36:37]
	ds_write2_b64 v170, v[56:57], v[44:45] offset1:1
	v_pk_fma_f32 v[48:49], v[40:41], s[12:13], v[46:47] neg_lo:[1,0,0] neg_hi:[1,0,0]
	v_pk_fma_f32 v[44:45], v[40:41], s[12:13], v[46:47]
	v_pk_mul_f32 v[50:51], v[70:71], s[30:31]
	v_mov_b32_e32 v49, v45
	v_pk_add_f32 v[52:53], v[0:1], v[48:49]
	v_pk_fma_f32 v[54:55], v[38:39], s[16:17], v[50:51] neg_lo:[1,0,0] neg_hi:[1,0,0]
	v_pk_fma_f32 v[48:49], v[38:39], s[16:17], v[50:51]
	s_mov_b32 s47, 0x3f29c268
	v_mov_b32_e32 v55, v49
	v_pk_add_f32 v[56:57], v[54:55], v[52:53]
	v_pk_mul_f32 v[54:55], v[72:73], s[40:41]
	s_mov_b32 s46, s38
	v_pk_fma_f32 v[58:59], v[36:37], s[20:21], v[54:55] neg_lo:[1,0,0] neg_hi:[1,0,0]
	v_pk_fma_f32 v[52:53], v[36:37], s[20:21], v[54:55]
	s_mov_b32 s22, s47
	v_mov_b32_e32 v59, v53
	v_pk_add_f32 v[60:61], v[58:59], v[56:57]
	s_mov_b32 s23, s38
	v_pk_mul_f32 v[58:59], v[76:77], s[46:47]
	s_mov_b32 s45, 0x3f7e222b
	v_pk_fma_f32 v[62:63], v[34:35], s[22:23], v[58:59] neg_lo:[1,0,0] neg_hi:[1,0,0]
	v_pk_fma_f32 v[56:57], v[34:35], s[22:23], v[58:59]
	s_mov_b32 s44, s42
	v_mov_b32_e32 v63, v57
	v_pk_add_f32 v[64:65], v[62:63], v[60:61]
	s_mov_b32 s24, s45
	s_mov_b32 s25, s42
	v_pk_mul_f32 v[62:63], v[84:85], s[44:45]
	s_mov_b32 s29, 0x3eedf032
	v_pk_fma_f32 v[66:67], v[32:33], s[24:25], v[62:63] neg_lo:[1,0,0] neg_hi:[1,0,0]
	v_pk_fma_f32 v[60:61], v[32:33], s[24:25], v[62:63]
	s_mov_b32 s26, s29
	v_mov_b32_e32 v67, v61
	v_pk_add_f32 v[74:75], v[66:67], v[64:65]
	s_mov_b32 s27, s28
	v_pk_mul_f32 v[66:67], v[102:103], s[28:29]
	v_pk_mul_f32 v[82:83], v[70:71], s[40:41]
	v_pk_fma_f32 v[78:79], v[30:31], s[26:27], v[66:67] neg_lo:[1,0,0] neg_hi:[1,0,0]
	v_pk_fma_f32 v[64:65], v[30:31], s[26:27], v[66:67]
	v_pk_fma_f32 v[88:89], v[38:39], s[20:21], v[82:83] neg_lo:[1,0,0] neg_hi:[1,0,0]
	v_mov_b32_e32 v79, v65
	v_pk_add_f32 v[104:105], v[78:79], v[74:75]
	v_pk_mul_f32 v[78:79], v[68:69], s[42:43]
	s_mov_b32 s49, 0x3f6f5d39
	v_pk_fma_f32 v[80:81], v[40:41], s[14:15], v[78:79] neg_lo:[1,0,0] neg_hi:[1,0,0]
	v_pk_fma_f32 v[74:75], v[40:41], s[14:15], v[78:79]
	s_mov_b32 s48, s30
	v_mov_b32_e32 v81, v75
	v_pk_add_f32 v[86:87], v[0:1], v[80:81]
	v_pk_fma_f32 v[80:81], v[38:39], s[20:21], v[82:83]
	s_mov_b32 s34, s49
	v_mov_b32_e32 v89, v81
	v_pk_add_f32 v[90:91], v[88:89], v[86:87]
	s_mov_b32 s35, s30
	v_pk_mul_f32 v[88:89], v[72:73], s[48:49]
	v_pk_mul_f32 v[108:109], v[102:103], s[38:39]
	v_pk_fma_f32 v[92:93], v[36:37], s[34:35], v[88:89] neg_lo:[1,0,0] neg_hi:[1,0,0]
	v_pk_fma_f32 v[86:87], v[36:37], s[34:35], v[88:89]
	v_pk_fma_f32 v[110:111], v[30:31], s[18:19], v[108:109] neg_lo:[1,0,0] neg_hi:[1,0,0]
	v_mov_b32_e32 v93, v87
	v_pk_add_f32 v[94:95], v[92:93], v[90:91]
	v_pk_mul_f32 v[92:93], v[76:77], s[28:29]
	v_pk_mul_f32 v[112:113], v[70:71], s[46:47]
	v_pk_fma_f32 v[96:97], v[34:35], s[26:27], v[92:93] neg_lo:[1,0,0] neg_hi:[1,0,0]
	v_pk_fma_f32 v[90:91], v[34:35], s[26:27], v[92:93]
	v_pk_fma_f32 v[114:115], v[38:39], s[22:23], v[112:113] neg_lo:[1,0,0] neg_hi:[1,0,0]
	v_mov_b32_e32 v97, v91
	v_pk_add_f32 v[98:99], v[96:97], v[94:95]
	v_pk_mul_f32 v[96:97], v[84:85], s[36:37]
	v_pk_fma_f32 v[116:117], v[38:39], s[22:23], v[112:113]
	v_pk_fma_f32 v[106:107], v[32:33], s[12:13], v[96:97] neg_lo:[1,0,0] neg_hi:[1,0,0]
	v_pk_fma_f32 v[94:95], v[32:33], s[12:13], v[96:97]
	v_mov_b32_e32 v115, v117
	v_mov_b32_e32 v107, v95
	v_pk_add_f32 v[106:107], v[106:107], v[98:99]
	v_pk_fma_f32 v[98:99], v[30:31], s[18:19], v[108:109]
	s_mov_b32 s49, 0x3e750f2a
	v_mov_b32_e32 v111, v99
	v_pk_add_f32 v[106:107], v[110:111], v[106:107]
	ds_write2_b64 v170, v[104:105], v[106:107] offset0:2 offset1:3
	v_pk_mul_f32 v[104:105], v[68:69], s[30:31]
	s_mov_b32 s48, s40
	v_pk_fma_f32 v[106:107], v[40:41], s[16:17], v[104:105] neg_lo:[1,0,0] neg_hi:[1,0,0]
	v_pk_fma_f32 v[110:111], v[40:41], s[16:17], v[104:105]
	s_mov_b32 s51, 0x3f52af12
	v_mov_b32_e32 v107, v111
	v_pk_add_f32 v[106:107], v[0:1], v[106:107]
	s_mov_b32 s50, s36
	v_pk_add_f32 v[106:107], v[114:115], v[106:107]
	v_pk_mul_f32 v[114:115], v[72:73], s[28:29]
	s_mov_b32 s46, s51
	v_pk_fma_f32 v[118:119], v[36:37], s[26:27], v[114:115] neg_lo:[1,0,0] neg_hi:[1,0,0]
	v_pk_fma_f32 v[120:121], v[36:37], s[26:27], v[114:115]
	s_mov_b32 s47, s36
	v_mov_b32_e32 v119, v121
	v_pk_add_f32 v[106:107], v[118:119], v[106:107]
	v_pk_mul_f32 v[118:119], v[76:77], s[42:43]
	s_mov_b32 s42, s49
	v_pk_fma_f32 v[122:123], v[34:35], s[14:15], v[118:119] neg_lo:[1,0,0] neg_hi:[1,0,0]
	v_pk_fma_f32 v[124:125], v[34:35], s[14:15], v[118:119]
	s_mov_b32 s43, s40
	v_mov_b32_e32 v123, v125
	v_pk_add_f32 v[106:107], v[122:123], v[106:107]
	v_pk_mul_f32 v[122:123], v[84:85], s[48:49]
	v_pk_mul_f32 v[138:139], v[70:71], s[44:45]
	v_pk_fma_f32 v[126:127], v[32:33], s[42:43], v[122:123] neg_lo:[1,0,0] neg_hi:[1,0,0]
	v_pk_fma_f32 v[128:129], v[32:33], s[42:43], v[122:123]
	v_pk_fma_f32 v[140:141], v[38:39], s[24:25], v[138:139] neg_lo:[1,0,0] neg_hi:[1,0,0]
	v_mov_b32_e32 v127, v129
	v_pk_add_f32 v[106:107], v[126:127], v[106:107]
	v_pk_mul_f32 v[126:127], v[102:103], s[50:51]
	v_pk_fma_f32 v[142:143], v[38:39], s[24:25], v[138:139]
	v_pk_fma_f32 v[130:131], v[30:31], s[46:47], v[126:127] neg_lo:[1,0,0] neg_hi:[1,0,0]
	v_pk_fma_f32 v[132:133], v[30:31], s[46:47], v[126:127]
	v_mov_b32_e32 v141, v143
	v_mov_b32_e32 v131, v133
	v_pk_add_f32 v[106:107], v[130:131], v[106:107]
	v_pk_mul_f32 v[130:131], v[68:69], s[38:39]
	v_pk_mul_f32 v[68:69], v[68:69], s[40:41]
	v_pk_fma_f32 v[134:135], v[40:41], s[18:19], v[130:131] neg_lo:[1,0,0] neg_hi:[1,0,0]
	v_pk_fma_f32 v[136:137], v[40:41], s[18:19], v[130:131]
	v_pk_mul_f32 v[70:71], v[70:71], s[28:29]
	v_mov_b32_e32 v135, v137
	v_pk_add_f32 v[134:135], v[0:1], v[134:135]
	v_pk_fma_f32 v[160:161], v[38:39], s[26:27], v[70:71]
	v_pk_add_f32 v[134:135], v[140:141], v[134:135]
	v_pk_mul_f32 v[140:141], v[72:73], s[36:37]
	v_pk_mul_f32 v[72:73], v[72:73], s[38:39]
	v_pk_fma_f32 v[144:145], v[36:37], s[12:13], v[140:141] neg_lo:[1,0,0] neg_hi:[1,0,0]
	v_pk_fma_f32 v[146:147], v[36:37], s[12:13], v[140:141]
	v_pk_fma_f32 v[162:163], v[36:37], s[18:19], v[72:73]
	v_mov_b32_e32 v145, v147
	v_pk_add_f32 v[134:135], v[144:145], v[134:135]
	v_pk_mul_f32 v[144:145], v[76:77], s[48:49]
	v_pk_mul_f32 v[76:77], v[76:77], s[50:51]
	v_pk_fma_f32 v[148:149], v[34:35], s[42:43], v[144:145] neg_lo:[1,0,0] neg_hi:[1,0,0]
	v_pk_fma_f32 v[150:151], v[34:35], s[42:43], v[144:145]
	v_pk_fma_f32 v[164:165], v[34:35], s[46:47], v[76:77]
	v_mov_b32_e32 v149, v151
	;; [unrolled: 7-line block ×4, first 2 shown]
	v_pk_add_f32 v[134:135], v[156:157], v[134:135]
	ds_write2_b64 v170, v[106:107], v[134:135] offset0:4 offset1:5
	v_pk_fma_f32 v[106:107], v[40:41], s[20:21], v[68:69] neg_lo:[1,0,0] neg_hi:[1,0,0]
	v_pk_fma_f32 v[134:135], v[40:41], s[20:21], v[68:69]
	v_pk_fma_f32 v[156:157], v[38:39], s[26:27], v[70:71] neg_lo:[1,0,0] neg_hi:[1,0,0]
	v_mov_b32_e32 v107, v135
	v_pk_add_f32 v[106:107], v[0:1], v[106:107]
	v_mov_b32_e32 v157, v161
	v_pk_add_f32 v[106:107], v[156:157], v[106:107]
	v_pk_fma_f32 v[156:157], v[36:37], s[18:19], v[72:73] neg_lo:[1,0,0] neg_hi:[1,0,0]
	v_pk_fma_f32 v[68:69], v[40:41], s[20:21], v[68:69] neg_lo:[0,0,1] neg_hi:[0,0,1]
	v_mov_b32_e32 v157, v163
	v_pk_add_f32 v[106:107], v[156:157], v[106:107]
	v_pk_fma_f32 v[156:157], v[34:35], s[46:47], v[76:77] neg_lo:[1,0,0] neg_hi:[1,0,0]
	v_mov_b32_e32 v135, v69
	v_mov_b32_e32 v157, v165
	v_pk_fma_f32 v[68:69], v[38:39], s[26:27], v[70:71] neg_lo:[0,0,1] neg_hi:[0,0,1]
	v_pk_fma_f32 v[70:71], v[36:37], s[18:19], v[72:73] neg_lo:[0,0,1] neg_hi:[0,0,1]
	v_pk_add_f32 v[106:107], v[156:157], v[106:107]
	v_pk_fma_f32 v[156:157], v[32:33], s[16:17], v[84:85] neg_lo:[1,0,0] neg_hi:[1,0,0]
	v_mov_b32_e32 v163, v71
	v_pk_fma_f32 v[70:71], v[34:35], s[46:47], v[76:77] neg_lo:[0,0,1] neg_hi:[0,0,1]
	v_mov_b32_e32 v157, v167
	v_mov_b32_e32 v161, v69
	v_pk_add_f32 v[68:69], v[0:1], v[134:135]
	v_mov_b32_e32 v165, v71
	v_pk_fma_f32 v[70:71], v[32:33], s[16:17], v[84:85] neg_lo:[0,0,1] neg_hi:[0,0,1]
	v_pk_add_f32 v[106:107], v[156:157], v[106:107]
	v_pk_fma_f32 v[156:157], v[30:31], s[24:25], v[102:103] neg_lo:[1,0,0] neg_hi:[1,0,0]
	v_pk_add_f32 v[68:69], v[160:161], v[68:69]
	v_mov_b32_e32 v167, v71
	v_pk_fma_f32 v[70:71], v[30:31], s[24:25], v[102:103] neg_lo:[0,0,1] neg_hi:[0,0,1]
	v_mov_b32_e32 v157, v169
	v_pk_add_f32 v[68:69], v[162:163], v[68:69]
	v_mov_b32_e32 v169, v71
	v_pk_fma_f32 v[70:71], v[36:37], s[12:13], v[140:141] neg_lo:[0,0,1] neg_hi:[0,0,1]
	v_pk_add_f32 v[68:69], v[164:165], v[68:69]
	v_mov_b32_e32 v147, v71
	v_pk_fma_f32 v[70:71], v[34:35], s[42:43], v[144:145] neg_lo:[0,0,1] neg_hi:[0,0,1]
	;; [unrolled: 3-line block ×3, first 2 shown]
	v_pk_add_f32 v[106:107], v[156:157], v[106:107]
	v_pk_add_f32 v[68:69], v[168:169], v[68:69]
	v_mov_b32_e32 v155, v71
	v_pk_fma_f32 v[70:71], v[30:31], s[16:17], v[152:153] neg_lo:[0,0,1] neg_hi:[0,0,1]
	ds_write2_b64 v170, v[106:107], v[68:69] offset0:6 offset1:7
	v_pk_fma_f32 v[68:69], v[40:41], s[18:19], v[130:131] neg_lo:[0,0,1] neg_hi:[0,0,1]
	v_mov_b32_e32 v159, v71
	v_pk_fma_f32 v[70:71], v[40:41], s[16:17], v[104:105] neg_lo:[0,0,1] neg_hi:[0,0,1]
	v_mov_b32_e32 v137, v69
	;; [unrolled: 2-line block ×4, first 2 shown]
	v_pk_add_f32 v[68:69], v[0:1], v[136:137]
	v_mov_b32_e32 v117, v71
	v_pk_add_f32 v[70:71], v[0:1], v[110:111]
	v_pk_fma_f32 v[72:73], v[36:37], s[26:27], v[114:115] neg_lo:[0,0,1] neg_hi:[0,0,1]
	v_pk_add_f32 v[68:69], v[142:143], v[68:69]
	v_pk_add_f32 v[70:71], v[116:117], v[70:71]
	v_mov_b32_e32 v121, v73
	v_pk_fma_f32 v[72:73], v[34:35], s[14:15], v[118:119] neg_lo:[0,0,1] neg_hi:[0,0,1]
	v_pk_add_f32 v[68:69], v[146:147], v[68:69]
	v_pk_add_f32 v[70:71], v[120:121], v[70:71]
	v_mov_b32_e32 v125, v73
	;; [unrolled: 4-line block ×4, first 2 shown]
	v_pk_add_f32 v[68:69], v[158:159], v[68:69]
	v_pk_add_f32 v[70:71], v[132:133], v[70:71]
	ds_write2_b64 v170, v[68:69], v[70:71] offset0:8 offset1:9
	v_pk_fma_f32 v[68:69], v[40:41], s[14:15], v[78:79] neg_lo:[0,0,1] neg_hi:[0,0,1]
	v_pk_fma_f32 v[46:47], v[40:41], s[12:13], v[46:47] neg_lo:[0,0,1] neg_hi:[0,0,1]
	;; [unrolled: 1-line block ×3, first 2 shown]
	v_mov_b32_e32 v75, v69
	v_pk_fma_f32 v[68:69], v[38:39], s[20:21], v[82:83] neg_lo:[0,0,1] neg_hi:[0,0,1]
	v_mov_b32_e32 v45, v47
	v_pk_fma_f32 v[46:47], v[38:39], s[16:17], v[50:51] neg_lo:[0,0,1] neg_hi:[0,0,1]
	v_mov_b32_e32 v5, v3
	v_pk_fma_f32 v[2:3], v[38:39], s[12:13], v[6:7] neg_lo:[0,0,1] neg_hi:[0,0,1]
	v_mov_b32_e32 v81, v69
	v_pk_add_f32 v[68:69], v[0:1], v[74:75]
	v_pk_fma_f32 v[70:71], v[36:37], s[34:35], v[88:89] neg_lo:[0,0,1] neg_hi:[0,0,1]
	v_mov_b32_e32 v49, v47
	v_pk_add_f32 v[44:45], v[0:1], v[44:45]
	v_pk_fma_f32 v[46:47], v[36:37], s[20:21], v[54:55] neg_lo:[0,0,1] neg_hi:[0,0,1]
	v_pk_add_f32 v[0:1], v[0:1], v[4:5]
	v_mov_b32_e32 v9, v3
	v_pk_fma_f32 v[2:3], v[36:37], s[14:15], v[10:11] neg_lo:[0,0,1] neg_hi:[0,0,1]
	v_pk_add_f32 v[68:69], v[80:81], v[68:69]
	v_mov_b32_e32 v87, v71
	;; [unrolled: 3-line block ×11, first 2 shown]
	v_pk_add_f32 v[44:45], v[60:61], v[44:45]
	v_mov_b32_e32 v65, v47
	v_pk_add_f32 v[0:1], v[20:21], v[0:1]
	v_mov_b32_e32 v43, v3
	v_pk_add_f32 v[68:69], v[98:99], v[68:69]
	v_pk_add_f32 v[44:45], v[64:65], v[44:45]
	;; [unrolled: 1-line block ×3, first 2 shown]
	ds_write2_b64 v170, v[68:69], v[44:45] offset0:10 offset1:11
	ds_write_b64 v170, v[0:1] offset:96
.LBB0_21:
	s_or_b64 exec, exec, s[4:5]
	s_movk_i32 s4, 0x4f
	v_mul_lo_u16_sdwa v0, v28, s4 dst_sel:DWORD dst_unused:UNUSED_PAD src0_sel:BYTE_0 src1_sel:DWORD
	v_lshrrev_b16_e32 v20, 10, v0
	v_add_u32_e32 v36, 0x75, v28
	v_mul_lo_u16_e32 v0, 13, v20
	v_sub_u16_e32 v21, v28, v0
	v_mul_lo_u16_sdwa v0, v36, s4 dst_sel:DWORD dst_unused:UNUSED_PAD src0_sel:BYTE_0 src1_sel:DWORD
	v_lshrrev_b16_e32 v22, 10, v0
	v_mul_lo_u16_e32 v0, 13, v22
	v_mov_b32_e32 v4, 4
	v_sub_u16_e32 v23, v36, v0
	v_lshlrev_b32_sdwa v0, v4, v23 dst_sel:DWORD dst_unused:UNUSED_PAD src0_sel:DWORD src1_sel:BYTE_0
	v_lshlrev_b32_sdwa v4, v4, v21 dst_sel:DWORD dst_unused:UNUSED_PAD src0_sel:DWORD src1_sel:BYTE_0
	s_waitcnt lgkmcnt(0)
	s_barrier
	global_load_dwordx4 v[0:3], v0, s[8:9]
	s_movk_i32 s10, 0xa5
	global_load_dwordx4 v[4:7], v4, s[8:9]
	v_mul_lo_u16_sdwa v31, v28, s10 dst_sel:DWORD dst_unused:UNUSED_PAD src0_sel:BYTE_0 src1_sel:DWORD
	v_sub_u16_sdwa v32, v28, v31 dst_sel:DWORD dst_unused:UNUSED_PAD src0_sel:DWORD src1_sel:BYTE_1
	v_lshrrev_b16_e32 v32, 1, v32
	v_mov_b32_e32 v37, 3
	v_and_b32_e32 v32, 0x7f, v32
	v_mul_u32_u24_e32 v20, 0x138, v20
	v_lshlrev_b32_sdwa v21, v37, v21 dst_sel:DWORD dst_unused:UNUSED_PAD src0_sel:DWORD src1_sel:BYTE_0
	v_add_u16_sdwa v31, v32, v31 dst_sel:DWORD dst_unused:UNUSED_PAD src0_sel:DWORD src1_sel:BYTE_1
	ds_read2_b64 v[8:11], v100 offset0:117 offset1:234
	ds_read2_b64 v[12:15], v101 offset0:95 offset1:212
	ds_read2_b32 v[16:17], v100 offset1:1
	ds_read_b64 v[18:19], v100 offset:4680
	v_add3_u32 v38, 0, v20, v21
	v_lshrrev_b16_e32 v20, 5, v31
	v_and_b32_e32 v40, 7, v20
	v_mul_lo_u16_e32 v20, 39, v40
	v_mov_b32_e32 v30, 5
	v_sub_u16_e32 v41, v28, v20
	v_mul_u32_u24_e32 v22, 0x138, v22
	v_lshlrev_b32_sdwa v23, v37, v23 dst_sel:DWORD dst_unused:UNUSED_PAD src0_sel:DWORD src1_sel:BYTE_0
	v_mul_u32_u24_sdwa v20, v41, v30 dst_sel:DWORD dst_unused:UNUSED_PAD src0_sel:BYTE_0 src1_sel:DWORD
	v_add3_u32 v39, 0, v22, v23
	v_lshlrev_b32_e32 v42, 3, v20
	s_mov_b32 s4, 0x3f5db3d7
	s_mov_b32 s5, 0xbf5db3d7
	s_waitcnt lgkmcnt(0)
	s_barrier
	s_movk_i32 s10, 0x750
	v_add_u32_e32 v44, 0xc00, v100
	s_waitcnt vmcnt(1)
	v_pk_mul_f32 v[20:21], v[0:1], v[12:13] op_sel:[0,1]
	v_pk_mul_f32 v[22:23], v[2:3], v[18:19] op_sel:[0,1]
	s_waitcnt vmcnt(0)
	v_pk_mul_f32 v[30:31], v[4:5], v[10:11] op_sel:[0,1]
	v_pk_mul_f32 v[32:33], v[6:7], v[14:15] op_sel:[0,1]
	v_pk_fma_f32 v[34:35], v[0:1], v[12:13], v[20:21] op_sel:[0,0,1] op_sel_hi:[1,1,0] neg_lo:[0,0,1] neg_hi:[0,0,1]
	v_pk_fma_f32 v[0:1], v[0:1], v[12:13], v[20:21] op_sel:[0,0,1] op_sel_hi:[1,0,0]
	v_pk_fma_f32 v[12:13], v[2:3], v[18:19], v[22:23] op_sel:[0,0,1] op_sel_hi:[1,1,0] neg_lo:[0,0,1] neg_hi:[0,0,1]
	v_pk_fma_f32 v[2:3], v[2:3], v[18:19], v[22:23] op_sel:[0,0,1] op_sel_hi:[1,0,0]
	;; [unrolled: 2-line block ×4, first 2 shown]
	v_mov_b32_e32 v35, v1
	v_mov_b32_e32 v13, v3
	;; [unrolled: 1-line block ×4, first 2 shown]
	v_pk_add_f32 v[2:3], v[18:19], v[16:17]
	v_pk_add_f32 v[4:5], v[18:19], v[10:11]
	v_pk_add_f32 v[6:7], v[18:19], v[10:11] neg_lo:[0,1] neg_hi:[0,1]
	v_pk_add_f32 v[14:15], v[34:35], v[12:13]
	v_pk_add_f32 v[18:19], v[34:35], v[12:13] neg_lo:[0,1] neg_hi:[0,1]
	v_pk_add_f32 v[0:1], v[8:9], v[34:35]
	v_pk_add_f32 v[2:3], v[2:3], v[10:11]
	v_pk_fma_f32 v[4:5], v[4:5], 0.5, v[16:17] op_sel_hi:[1,0,1] neg_lo:[1,0,0] neg_hi:[1,0,0]
	v_pk_mul_f32 v[6:7], v[6:7], s[4:5] op_sel_hi:[1,0]
	v_pk_fma_f32 v[8:9], v[14:15], 0.5, v[8:9] op_sel_hi:[1,0,1] neg_lo:[1,0,0] neg_hi:[1,0,0]
	v_pk_mul_f32 v[10:11], v[18:19], s[4:5] op_sel_hi:[1,0]
	v_pk_add_f32 v[0:1], v[0:1], v[12:13]
	v_pk_add_f32 v[12:13], v[4:5], v[6:7] op_sel:[0,1] op_sel_hi:[1,0]
	v_pk_add_f32 v[4:5], v[4:5], v[6:7] op_sel:[0,1] op_sel_hi:[1,0] neg_lo:[0,1] neg_hi:[0,1]
	v_pk_add_f32 v[6:7], v[8:9], v[10:11] op_sel:[0,1] op_sel_hi:[1,0]
	v_pk_add_f32 v[8:9], v[8:9], v[10:11] op_sel:[0,1] op_sel_hi:[1,0] neg_lo:[0,1] neg_hi:[0,1]
	v_mov_b32_e32 v10, v12
	v_mov_b32_e32 v11, v5
	;; [unrolled: 1-line block ×6, first 2 shown]
	ds_write2_b64 v38, v[2:3], v[10:11] offset1:13
	ds_write_b64 v38, v[4:5] offset:208
	ds_write2_b64 v39, v[0:1], v[12:13] offset1:13
	ds_write_b64 v39, v[8:9] offset:208
	s_waitcnt lgkmcnt(0)
	s_barrier
	global_load_dwordx4 v[2:5], v42, s[8:9] offset:208
	global_load_dwordx4 v[6:9], v42, s[8:9] offset:224
	global_load_dwordx2 v[22:23], v42, s[8:9] offset:240
	v_mul_u32_u24_sdwa v10, v40, s10 dst_sel:DWORD dst_unused:UNUSED_PAD src0_sel:WORD_0 src1_sel:DWORD
	v_lshlrev_b32_sdwa v11, v37, v41 dst_sel:DWORD dst_unused:UNUSED_PAD src0_sel:DWORD src1_sel:BYTE_0
	v_add3_u32 v45, 0, v10, v11
	ds_read2_b64 v[10:13], v100 offset1:117
	ds_read2_b64 v[14:17], v29 offset0:106 offset1:223
	ds_read2_b64 v[18:21], v44 offset0:84 offset1:201
	v_lshlrev_b32_e32 v0, 1, v28
	v_mov_b32_e32 v1, 0
	v_lshl_add_u64 v[30:31], v[0:1], 3, s[8:9]
	v_lshlrev_b32_e32 v0, 1, v36
	s_waitcnt lgkmcnt(0)
	s_barrier
	s_waitcnt vmcnt(2)
	v_pk_mul_f32 v[32:33], v[2:3], v[12:13] op_sel:[0,1]
	v_pk_mul_f32 v[34:35], v[4:5], v[14:15] op_sel:[0,1]
	s_waitcnt vmcnt(1)
	v_pk_mul_f32 v[36:37], v[6:7], v[16:17] op_sel:[0,1]
	v_pk_mul_f32 v[38:39], v[8:9], v[18:19] op_sel:[0,1]
	s_waitcnt vmcnt(0)
	v_pk_mul_f32 v[40:41], v[22:23], v[20:21] op_sel:[0,1]
	v_pk_fma_f32 v[42:43], v[2:3], v[12:13], v[32:33] op_sel:[0,0,1] op_sel_hi:[1,1,0] neg_lo:[0,0,1] neg_hi:[0,0,1]
	v_pk_fma_f32 v[2:3], v[2:3], v[12:13], v[32:33] op_sel:[0,0,1] op_sel_hi:[1,0,0]
	v_pk_fma_f32 v[12:13], v[4:5], v[14:15], v[34:35] op_sel:[0,0,1] op_sel_hi:[1,1,0] neg_lo:[0,0,1] neg_hi:[0,0,1]
	v_pk_fma_f32 v[4:5], v[4:5], v[14:15], v[34:35] op_sel:[0,0,1] op_sel_hi:[1,0,0]
	;; [unrolled: 2-line block ×5, first 2 shown]
	v_mov_b32_e32 v13, v5
	v_mov_b32_e32 v15, v7
	;; [unrolled: 1-line block ×5, first 2 shown]
	v_pk_add_f32 v[2:3], v[10:11], v[12:13]
	v_pk_add_f32 v[6:7], v[12:13], v[16:17]
	v_pk_add_f32 v[8:9], v[12:13], v[16:17] neg_lo:[0,1] neg_hi:[0,1]
	v_pk_add_f32 v[12:13], v[14:15], v[18:19]
	v_pk_add_f32 v[4:5], v[42:43], v[14:15]
	v_pk_add_f32 v[14:15], v[14:15], v[18:19] neg_lo:[0,1] neg_hi:[0,1]
	v_pk_fma_f32 v[6:7], v[6:7], 0.5, v[10:11] op_sel_hi:[1,0,1] neg_lo:[1,0,0] neg_hi:[1,0,0]
	v_pk_mul_f32 v[8:9], v[8:9], s[4:5] op_sel_hi:[1,0]
	v_pk_fma_f32 v[10:11], v[12:13], 0.5, v[42:43] op_sel_hi:[1,0,1] neg_lo:[1,0,0] neg_hi:[1,0,0]
	v_pk_add_f32 v[2:3], v[2:3], v[16:17]
	v_pk_add_f32 v[4:5], v[4:5], v[18:19]
	v_pk_add_f32 v[16:17], v[8:9], v[6:7] op_sel:[1,0] op_sel_hi:[0,1]
	v_pk_add_f32 v[6:7], v[6:7], v[8:9] op_sel:[0,1] op_sel_hi:[1,0] neg_lo:[0,1] neg_hi:[0,1]
	v_pk_fma_f32 v[8:9], v[14:15], s[4:5], v[10:11] op_sel:[0,0,1] op_sel_hi:[1,0,0]
	v_pk_fma_f32 v[10:11], v[14:15], s[4:5], v[10:11] op_sel:[0,0,1] op_sel_hi:[1,0,0] neg_lo:[1,0,0] neg_hi:[1,0,0]
	v_pk_add_f32 v[12:13], v[2:3], v[4:5]
	v_pk_add_f32 v[2:3], v[2:3], v[4:5] neg_lo:[0,1] neg_hi:[0,1]
	v_mov_b32_e32 v4, v6
	v_mov_b32_e32 v14, v8
	;; [unrolled: 1-line block ×3, first 2 shown]
	v_mul_f32_e32 v6, 0x3f5db3d7, v10
	v_mov_b32_e32 v5, v17
	v_mul_f32_e32 v17, 0xbf5db3d7, v9
	v_fmac_f32_e32 v6, 0.5, v9
	v_pk_mul_f32 v[8:9], v[14:15], 0.5 op_sel_hi:[1,0]
	v_fmac_f32_e32 v17, 0.5, v10
	v_pk_fma_f32 v[8:9], v[14:15], s[4:5], v[8:9] op_sel:[0,0,1] op_sel_hi:[1,1,0] neg_lo:[0,0,1] neg_hi:[0,0,1]
	v_add_f32_e32 v10, v16, v6
	v_add_f32_e32 v11, v7, v17
	v_sub_f32_e32 v6, v16, v6
	v_sub_f32_e32 v7, v7, v17
	v_pk_add_f32 v[14:15], v[4:5], v[8:9]
	ds_write2_b64 v45, v[12:13], v[10:11] offset1:39
	v_pk_add_f32 v[4:5], v[4:5], v[8:9] neg_lo:[0,1] neg_hi:[0,1]
	ds_write2_b64 v45, v[14:15], v[2:3] offset0:78 offset1:117
	ds_write2_b64 v45, v[6:7], v[4:5] offset0:156 offset1:195
	v_lshl_add_u64 v[6:7], v[0:1], 3, s[8:9]
	s_waitcnt lgkmcnt(0)
	s_barrier
	global_load_dwordx4 v[2:5], v[30:31], off offset:1768
	s_nop 0
	global_load_dwordx4 v[6:9], v[6:7], off offset:1768
	ds_read2_b64 v[10:13], v100 offset1:117
	ds_read2_b64 v[14:17], v29 offset0:106 offset1:223
	ds_read2_b64 v[18:21], v44 offset0:84 offset1:201
	s_waitcnt lgkmcnt(0)
	s_barrier
	s_waitcnt vmcnt(1)
	v_pk_mul_f32 v[22:23], v[2:3], v[14:15] op_sel:[0,1]
	v_pk_mul_f32 v[30:31], v[4:5], v[18:19] op_sel:[0,1]
	s_waitcnt vmcnt(0)
	v_pk_mul_f32 v[32:33], v[6:7], v[16:17] op_sel:[0,1]
	v_pk_mul_f32 v[34:35], v[8:9], v[20:21] op_sel:[0,1]
	v_pk_fma_f32 v[36:37], v[2:3], v[14:15], v[22:23] op_sel:[0,0,1] op_sel_hi:[1,1,0] neg_lo:[0,0,1] neg_hi:[0,0,1]
	v_pk_fma_f32 v[2:3], v[2:3], v[14:15], v[22:23] op_sel:[0,0,1] op_sel_hi:[1,0,0]
	v_pk_fma_f32 v[14:15], v[4:5], v[18:19], v[30:31] op_sel:[0,0,1] op_sel_hi:[1,1,0] neg_lo:[0,0,1] neg_hi:[0,0,1]
	v_pk_fma_f32 v[4:5], v[4:5], v[18:19], v[30:31] op_sel:[0,0,1] op_sel_hi:[1,0,0]
	;; [unrolled: 2-line block ×4, first 2 shown]
	v_mov_b32_e32 v37, v3
	v_mov_b32_e32 v15, v5
	;; [unrolled: 1-line block ×4, first 2 shown]
	v_pk_add_f32 v[2:3], v[36:37], v[10:11]
	v_pk_add_f32 v[4:5], v[12:13], v[18:19]
	;; [unrolled: 1-line block ×3, first 2 shown]
	v_pk_add_f32 v[8:9], v[36:37], v[14:15] neg_lo:[0,1] neg_hi:[0,1]
	v_pk_add_f32 v[20:21], v[18:19], v[16:17]
	v_pk_add_f32 v[18:19], v[18:19], v[16:17] neg_lo:[0,1] neg_hi:[0,1]
	v_pk_add_f32 v[2:3], v[2:3], v[14:15]
	v_pk_add_f32 v[4:5], v[4:5], v[16:17]
	v_pk_fma_f32 v[6:7], v[6:7], 0.5, v[10:11] op_sel_hi:[1,0,1] neg_lo:[1,0,0] neg_hi:[1,0,0]
	v_pk_mul_f32 v[8:9], v[8:9], s[4:5] op_sel_hi:[1,0]
	v_pk_fma_f32 v[10:11], v[20:21], 0.5, v[12:13] op_sel_hi:[1,0,1] neg_lo:[1,0,0] neg_hi:[1,0,0]
	v_pk_mul_f32 v[12:13], v[18:19], s[4:5] op_sel_hi:[1,0]
	v_pk_add_f32 v[14:15], v[6:7], v[8:9] op_sel:[0,1] op_sel_hi:[1,0]
	v_pk_add_f32 v[6:7], v[6:7], v[8:9] op_sel:[0,1] op_sel_hi:[1,0] neg_lo:[0,1] neg_hi:[0,1]
	ds_write2_b64 v100, v[2:3], v[4:5] offset1:117
	v_pk_add_f32 v[2:3], v[10:11], v[12:13] op_sel:[0,1] op_sel_hi:[1,0]
	v_pk_add_f32 v[4:5], v[10:11], v[12:13] op_sel:[0,1] op_sel_hi:[1,0] neg_lo:[0,1] neg_hi:[0,1]
	v_mov_b32_e32 v8, v14
	v_mov_b32_e32 v9, v7
	;; [unrolled: 1-line block ×6, first 2 shown]
	ds_write2_b64 v29, v[8:9], v[10:11] offset0:106 offset1:223
	ds_write2_b64 v44, v[6:7], v[4:5] offset0:84 offset1:201
	s_waitcnt lgkmcnt(0)
	s_barrier
	s_and_saveexec_b64 s[4:5], s[0:1]
	s_cbranch_execz .LBB0_23
; %bb.22:
	v_mul_lo_u32 v0, s3, v26
	v_mul_lo_u32 v2, s2, v27
	v_mad_u64_u32 v[6:7], s[0:1], s2, v26, 0
	v_lshl_add_u32 v12, v28, 3, 0
	v_add3_u32 v7, v7, v2, v0
	ds_read2_b64 v[2:5], v12 offset1:117
	v_lshl_add_u64 v[6:7], v[6:7], 3, s[6:7]
	v_mov_b32_e32 v29, v1
	v_lshl_add_u64 v[10:11], v[24:25], 3, v[6:7]
	v_lshl_add_u64 v[6:7], v[28:29], 3, v[10:11]
	s_waitcnt lgkmcnt(0)
	global_store_dwordx2 v[6:7], v[2:3], off
	v_add_u32_e32 v2, 0x400, v12
	ds_read2_b64 v[6:9], v2 offset0:106 offset1:223
	v_add_u32_e32 v0, 0x75, v28
	v_lshl_add_u64 v[2:3], v[0:1], 3, v[10:11]
	v_add_u32_e32 v0, 0xea, v28
	global_store_dwordx2 v[2:3], v[4:5], off
	v_lshl_add_u64 v[2:3], v[0:1], 3, v[10:11]
	s_waitcnt lgkmcnt(0)
	global_store_dwordx2 v[2:3], v[6:7], off
	v_add_u32_e32 v2, 0xc00, v12
	ds_read2_b64 v[2:5], v2 offset0:84 offset1:201
	v_add_u32_e32 v0, 0x15f, v28
	v_lshl_add_u64 v[6:7], v[0:1], 3, v[10:11]
	v_add_u32_e32 v0, 0x1d4, v28
	global_store_dwordx2 v[6:7], v[8:9], off
	v_lshl_add_u64 v[6:7], v[0:1], 3, v[10:11]
	v_add_u32_e32 v0, 0x249, v28
	v_lshl_add_u64 v[0:1], v[0:1], 3, v[10:11]
	s_waitcnt lgkmcnt(0)
	global_store_dwordx2 v[6:7], v[2:3], off
	global_store_dwordx2 v[0:1], v[4:5], off
.LBB0_23:
	s_endpgm
	.section	.rodata,"a",@progbits
	.p2align	6, 0x0
	.amdhsa_kernel fft_rtc_fwd_len702_factors_13_3_6_3_wgs_117_tpt_117_halfLds_sp_op_CI_CI_unitstride_sbrr_C2R_dirReg
		.amdhsa_group_segment_fixed_size 0
		.amdhsa_private_segment_fixed_size 0
		.amdhsa_kernarg_size 104
		.amdhsa_user_sgpr_count 2
		.amdhsa_user_sgpr_dispatch_ptr 0
		.amdhsa_user_sgpr_queue_ptr 0
		.amdhsa_user_sgpr_kernarg_segment_ptr 1
		.amdhsa_user_sgpr_dispatch_id 0
		.amdhsa_user_sgpr_kernarg_preload_length 0
		.amdhsa_user_sgpr_kernarg_preload_offset 0
		.amdhsa_user_sgpr_private_segment_size 0
		.amdhsa_uses_dynamic_stack 0
		.amdhsa_enable_private_segment 0
		.amdhsa_system_sgpr_workgroup_id_x 1
		.amdhsa_system_sgpr_workgroup_id_y 0
		.amdhsa_system_sgpr_workgroup_id_z 0
		.amdhsa_system_sgpr_workgroup_info 0
		.amdhsa_system_vgpr_workitem_id 0
		.amdhsa_next_free_vgpr 171
		.amdhsa_next_free_sgpr 52
		.amdhsa_accum_offset 172
		.amdhsa_reserve_vcc 1
		.amdhsa_float_round_mode_32 0
		.amdhsa_float_round_mode_16_64 0
		.amdhsa_float_denorm_mode_32 3
		.amdhsa_float_denorm_mode_16_64 3
		.amdhsa_dx10_clamp 1
		.amdhsa_ieee_mode 1
		.amdhsa_fp16_overflow 0
		.amdhsa_tg_split 0
		.amdhsa_exception_fp_ieee_invalid_op 0
		.amdhsa_exception_fp_denorm_src 0
		.amdhsa_exception_fp_ieee_div_zero 0
		.amdhsa_exception_fp_ieee_overflow 0
		.amdhsa_exception_fp_ieee_underflow 0
		.amdhsa_exception_fp_ieee_inexact 0
		.amdhsa_exception_int_div_zero 0
	.end_amdhsa_kernel
	.text
.Lfunc_end0:
	.size	fft_rtc_fwd_len702_factors_13_3_6_3_wgs_117_tpt_117_halfLds_sp_op_CI_CI_unitstride_sbrr_C2R_dirReg, .Lfunc_end0-fft_rtc_fwd_len702_factors_13_3_6_3_wgs_117_tpt_117_halfLds_sp_op_CI_CI_unitstride_sbrr_C2R_dirReg
                                        ; -- End function
	.section	.AMDGPU.csdata,"",@progbits
; Kernel info:
; codeLenInByte = 6568
; NumSgprs: 58
; NumVgprs: 171
; NumAgprs: 0
; TotalNumVgprs: 171
; ScratchSize: 0
; MemoryBound: 0
; FloatMode: 240
; IeeeMode: 1
; LDSByteSize: 0 bytes/workgroup (compile time only)
; SGPRBlocks: 7
; VGPRBlocks: 21
; NumSGPRsForWavesPerEU: 58
; NumVGPRsForWavesPerEU: 171
; AccumOffset: 172
; Occupancy: 2
; WaveLimiterHint : 1
; COMPUTE_PGM_RSRC2:SCRATCH_EN: 0
; COMPUTE_PGM_RSRC2:USER_SGPR: 2
; COMPUTE_PGM_RSRC2:TRAP_HANDLER: 0
; COMPUTE_PGM_RSRC2:TGID_X_EN: 1
; COMPUTE_PGM_RSRC2:TGID_Y_EN: 0
; COMPUTE_PGM_RSRC2:TGID_Z_EN: 0
; COMPUTE_PGM_RSRC2:TIDIG_COMP_CNT: 0
; COMPUTE_PGM_RSRC3_GFX90A:ACCUM_OFFSET: 42
; COMPUTE_PGM_RSRC3_GFX90A:TG_SPLIT: 0
	.text
	.p2alignl 6, 3212836864
	.fill 256, 4, 3212836864
	.type	__hip_cuid_af59319d1311c310,@object ; @__hip_cuid_af59319d1311c310
	.section	.bss,"aw",@nobits
	.globl	__hip_cuid_af59319d1311c310
__hip_cuid_af59319d1311c310:
	.byte	0                               ; 0x0
	.size	__hip_cuid_af59319d1311c310, 1

	.ident	"AMD clang version 19.0.0git (https://github.com/RadeonOpenCompute/llvm-project roc-6.4.0 25133 c7fe45cf4b819c5991fe208aaa96edf142730f1d)"
	.section	".note.GNU-stack","",@progbits
	.addrsig
	.addrsig_sym __hip_cuid_af59319d1311c310
	.amdgpu_metadata
---
amdhsa.kernels:
  - .agpr_count:     0
    .args:
      - .actual_access:  read_only
        .address_space:  global
        .offset:         0
        .size:           8
        .value_kind:     global_buffer
      - .offset:         8
        .size:           8
        .value_kind:     by_value
      - .actual_access:  read_only
        .address_space:  global
        .offset:         16
        .size:           8
        .value_kind:     global_buffer
      - .actual_access:  read_only
        .address_space:  global
        .offset:         24
        .size:           8
        .value_kind:     global_buffer
      - .actual_access:  read_only
        .address_space:  global
        .offset:         32
        .size:           8
        .value_kind:     global_buffer
      - .offset:         40
        .size:           8
        .value_kind:     by_value
      - .actual_access:  read_only
        .address_space:  global
        .offset:         48
        .size:           8
        .value_kind:     global_buffer
      - .actual_access:  read_only
        .address_space:  global
        .offset:         56
        .size:           8
        .value_kind:     global_buffer
      - .offset:         64
        .size:           4
        .value_kind:     by_value
      - .actual_access:  read_only
        .address_space:  global
        .offset:         72
        .size:           8
        .value_kind:     global_buffer
      - .actual_access:  read_only
        .address_space:  global
        .offset:         80
        .size:           8
        .value_kind:     global_buffer
      - .actual_access:  read_only
        .address_space:  global
        .offset:         88
        .size:           8
        .value_kind:     global_buffer
      - .actual_access:  write_only
        .address_space:  global
        .offset:         96
        .size:           8
        .value_kind:     global_buffer
    .group_segment_fixed_size: 0
    .kernarg_segment_align: 8
    .kernarg_segment_size: 104
    .language:       OpenCL C
    .language_version:
      - 2
      - 0
    .max_flat_workgroup_size: 117
    .name:           fft_rtc_fwd_len702_factors_13_3_6_3_wgs_117_tpt_117_halfLds_sp_op_CI_CI_unitstride_sbrr_C2R_dirReg
    .private_segment_fixed_size: 0
    .sgpr_count:     58
    .sgpr_spill_count: 0
    .symbol:         fft_rtc_fwd_len702_factors_13_3_6_3_wgs_117_tpt_117_halfLds_sp_op_CI_CI_unitstride_sbrr_C2R_dirReg.kd
    .uniform_work_group_size: 1
    .uses_dynamic_stack: false
    .vgpr_count:     171
    .vgpr_spill_count: 0
    .wavefront_size: 64
amdhsa.target:   amdgcn-amd-amdhsa--gfx950
amdhsa.version:
  - 1
  - 2
...

	.end_amdgpu_metadata
